;; amdgpu-corpus repo=ROCm/rocFFT kind=compiled arch=gfx1030 opt=O3
	.text
	.amdgcn_target "amdgcn-amd-amdhsa--gfx1030"
	.amdhsa_code_object_version 6
	.protected	fft_rtc_fwd_len320_factors_10_4_4_2_wgs_64_tpt_16_halfLds_dp_ip_CI_unitstride_sbrr_dirReg ; -- Begin function fft_rtc_fwd_len320_factors_10_4_4_2_wgs_64_tpt_16_halfLds_dp_ip_CI_unitstride_sbrr_dirReg
	.globl	fft_rtc_fwd_len320_factors_10_4_4_2_wgs_64_tpt_16_halfLds_dp_ip_CI_unitstride_sbrr_dirReg
	.p2align	8
	.type	fft_rtc_fwd_len320_factors_10_4_4_2_wgs_64_tpt_16_halfLds_dp_ip_CI_unitstride_sbrr_dirReg,@function
fft_rtc_fwd_len320_factors_10_4_4_2_wgs_64_tpt_16_halfLds_dp_ip_CI_unitstride_sbrr_dirReg: ; @fft_rtc_fwd_len320_factors_10_4_4_2_wgs_64_tpt_16_halfLds_dp_ip_CI_unitstride_sbrr_dirReg
; %bb.0:
	s_clause 0x2
	s_load_dwordx4 s[8:11], s[4:5], 0x0
	s_load_dwordx2 s[2:3], s[4:5], 0x50
	s_load_dwordx2 s[12:13], s[4:5], 0x18
	v_lshrrev_b32_e32 v91, 4, v0
	v_mov_b32_e32 v3, 0
	v_mov_b32_e32 v1, 0
	;; [unrolled: 1-line block ×3, first 2 shown]
	v_lshl_or_b32 v5, s6, 2, v91
	v_mov_b32_e32 v6, v3
	s_waitcnt lgkmcnt(0)
	v_cmp_lt_u64_e64 s0, s[10:11], 2
	s_and_b32 vcc_lo, exec_lo, s0
	s_cbranch_vccnz .LBB0_8
; %bb.1:
	s_load_dwordx2 s[0:1], s[4:5], 0x10
	v_mov_b32_e32 v1, 0
	s_add_u32 s6, s12, 8
	v_mov_b32_e32 v2, 0
	s_addc_u32 s7, s13, 0
	s_mov_b64 s[16:17], 1
	s_waitcnt lgkmcnt(0)
	s_add_u32 s14, s0, 8
	s_addc_u32 s15, s1, 0
.LBB0_2:                                ; =>This Inner Loop Header: Depth=1
	s_load_dwordx2 s[18:19], s[14:15], 0x0
                                        ; implicit-def: $vgpr7_vgpr8
	s_mov_b32 s0, exec_lo
	s_waitcnt lgkmcnt(0)
	v_or_b32_e32 v4, s19, v6
	v_cmpx_ne_u64_e32 0, v[3:4]
	s_xor_b32 s1, exec_lo, s0
	s_cbranch_execz .LBB0_4
; %bb.3:                                ;   in Loop: Header=BB0_2 Depth=1
	v_cvt_f32_u32_e32 v4, s18
	v_cvt_f32_u32_e32 v7, s19
	s_sub_u32 s0, 0, s18
	s_subb_u32 s20, 0, s19
	v_fmac_f32_e32 v4, 0x4f800000, v7
	v_rcp_f32_e32 v4, v4
	v_mul_f32_e32 v4, 0x5f7ffffc, v4
	v_mul_f32_e32 v7, 0x2f800000, v4
	v_trunc_f32_e32 v7, v7
	v_fmac_f32_e32 v4, 0xcf800000, v7
	v_cvt_u32_f32_e32 v7, v7
	v_cvt_u32_f32_e32 v4, v4
	v_mul_lo_u32 v8, s0, v7
	v_mul_hi_u32 v9, s0, v4
	v_mul_lo_u32 v10, s20, v4
	v_add_nc_u32_e32 v8, v9, v8
	v_mul_lo_u32 v9, s0, v4
	v_add_nc_u32_e32 v8, v8, v10
	v_mul_hi_u32 v10, v4, v9
	v_mul_lo_u32 v11, v4, v8
	v_mul_hi_u32 v12, v4, v8
	v_mul_hi_u32 v13, v7, v9
	v_mul_lo_u32 v9, v7, v9
	v_mul_hi_u32 v14, v7, v8
	v_mul_lo_u32 v8, v7, v8
	v_add_co_u32 v10, vcc_lo, v10, v11
	v_add_co_ci_u32_e32 v11, vcc_lo, 0, v12, vcc_lo
	v_add_co_u32 v9, vcc_lo, v10, v9
	v_add_co_ci_u32_e32 v9, vcc_lo, v11, v13, vcc_lo
	v_add_co_ci_u32_e32 v10, vcc_lo, 0, v14, vcc_lo
	v_add_co_u32 v8, vcc_lo, v9, v8
	v_add_co_ci_u32_e32 v9, vcc_lo, 0, v10, vcc_lo
	v_add_co_u32 v4, vcc_lo, v4, v8
	v_add_co_ci_u32_e32 v7, vcc_lo, v7, v9, vcc_lo
	v_mul_hi_u32 v8, s0, v4
	v_mul_lo_u32 v10, s20, v4
	v_mul_lo_u32 v9, s0, v7
	v_add_nc_u32_e32 v8, v8, v9
	v_mul_lo_u32 v9, s0, v4
	v_add_nc_u32_e32 v8, v8, v10
	v_mul_hi_u32 v10, v4, v9
	v_mul_lo_u32 v11, v4, v8
	v_mul_hi_u32 v12, v4, v8
	v_mul_hi_u32 v13, v7, v9
	v_mul_lo_u32 v9, v7, v9
	v_mul_hi_u32 v14, v7, v8
	v_mul_lo_u32 v8, v7, v8
	v_add_co_u32 v10, vcc_lo, v10, v11
	v_add_co_ci_u32_e32 v11, vcc_lo, 0, v12, vcc_lo
	v_add_co_u32 v9, vcc_lo, v10, v9
	v_add_co_ci_u32_e32 v9, vcc_lo, v11, v13, vcc_lo
	v_add_co_ci_u32_e32 v10, vcc_lo, 0, v14, vcc_lo
	v_add_co_u32 v8, vcc_lo, v9, v8
	v_add_co_ci_u32_e32 v9, vcc_lo, 0, v10, vcc_lo
	v_add_co_u32 v4, vcc_lo, v4, v8
	v_add_co_ci_u32_e32 v11, vcc_lo, v7, v9, vcc_lo
	v_mul_hi_u32 v13, v5, v4
	v_mad_u64_u32 v[9:10], null, v6, v4, 0
	v_mad_u64_u32 v[7:8], null, v5, v11, 0
	;; [unrolled: 1-line block ×3, first 2 shown]
	v_add_co_u32 v4, vcc_lo, v13, v7
	v_add_co_ci_u32_e32 v7, vcc_lo, 0, v8, vcc_lo
	v_add_co_u32 v4, vcc_lo, v4, v9
	v_add_co_ci_u32_e32 v4, vcc_lo, v7, v10, vcc_lo
	v_add_co_ci_u32_e32 v7, vcc_lo, 0, v12, vcc_lo
	v_add_co_u32 v4, vcc_lo, v4, v11
	v_add_co_ci_u32_e32 v9, vcc_lo, 0, v7, vcc_lo
	v_mul_lo_u32 v10, s19, v4
	v_mad_u64_u32 v[7:8], null, s18, v4, 0
	v_mul_lo_u32 v11, s18, v9
	v_sub_co_u32 v7, vcc_lo, v5, v7
	v_add3_u32 v8, v8, v11, v10
	v_sub_nc_u32_e32 v10, v6, v8
	v_subrev_co_ci_u32_e64 v10, s0, s19, v10, vcc_lo
	v_add_co_u32 v11, s0, v4, 2
	v_add_co_ci_u32_e64 v12, s0, 0, v9, s0
	v_sub_co_u32 v13, s0, v7, s18
	v_sub_co_ci_u32_e32 v8, vcc_lo, v6, v8, vcc_lo
	v_subrev_co_ci_u32_e64 v10, s0, 0, v10, s0
	v_cmp_le_u32_e32 vcc_lo, s18, v13
	v_cmp_eq_u32_e64 s0, s19, v8
	v_cndmask_b32_e64 v13, 0, -1, vcc_lo
	v_cmp_le_u32_e32 vcc_lo, s19, v10
	v_cndmask_b32_e64 v14, 0, -1, vcc_lo
	v_cmp_le_u32_e32 vcc_lo, s18, v7
	;; [unrolled: 2-line block ×3, first 2 shown]
	v_cndmask_b32_e64 v15, 0, -1, vcc_lo
	v_cmp_eq_u32_e32 vcc_lo, s19, v10
	v_cndmask_b32_e64 v7, v15, v7, s0
	v_cndmask_b32_e32 v10, v14, v13, vcc_lo
	v_add_co_u32 v13, vcc_lo, v4, 1
	v_add_co_ci_u32_e32 v14, vcc_lo, 0, v9, vcc_lo
	v_cmp_ne_u32_e32 vcc_lo, 0, v10
	v_cndmask_b32_e32 v8, v14, v12, vcc_lo
	v_cndmask_b32_e32 v10, v13, v11, vcc_lo
	v_cmp_ne_u32_e32 vcc_lo, 0, v7
	v_cndmask_b32_e32 v8, v9, v8, vcc_lo
	v_cndmask_b32_e32 v7, v4, v10, vcc_lo
.LBB0_4:                                ;   in Loop: Header=BB0_2 Depth=1
	s_andn2_saveexec_b32 s0, s1
	s_cbranch_execz .LBB0_6
; %bb.5:                                ;   in Loop: Header=BB0_2 Depth=1
	v_cvt_f32_u32_e32 v4, s18
	s_sub_i32 s1, 0, s18
	v_rcp_iflag_f32_e32 v4, v4
	v_mul_f32_e32 v4, 0x4f7ffffe, v4
	v_cvt_u32_f32_e32 v4, v4
	v_mul_lo_u32 v7, s1, v4
	v_mul_hi_u32 v7, v4, v7
	v_add_nc_u32_e32 v4, v4, v7
	v_mul_hi_u32 v4, v5, v4
	v_mul_lo_u32 v7, v4, s18
	v_add_nc_u32_e32 v8, 1, v4
	v_sub_nc_u32_e32 v7, v5, v7
	v_subrev_nc_u32_e32 v9, s18, v7
	v_cmp_le_u32_e32 vcc_lo, s18, v7
	v_cndmask_b32_e32 v7, v7, v9, vcc_lo
	v_cndmask_b32_e32 v4, v4, v8, vcc_lo
	v_cmp_le_u32_e32 vcc_lo, s18, v7
	v_add_nc_u32_e32 v8, 1, v4
	v_cndmask_b32_e32 v7, v4, v8, vcc_lo
	v_mov_b32_e32 v8, v3
.LBB0_6:                                ;   in Loop: Header=BB0_2 Depth=1
	s_or_b32 exec_lo, exec_lo, s0
	s_load_dwordx2 s[0:1], s[6:7], 0x0
	v_mul_lo_u32 v4, v8, s18
	v_mul_lo_u32 v11, v7, s19
	v_mad_u64_u32 v[9:10], null, v7, s18, 0
	s_add_u32 s16, s16, 1
	s_addc_u32 s17, s17, 0
	s_add_u32 s6, s6, 8
	s_addc_u32 s7, s7, 0
	;; [unrolled: 2-line block ×3, first 2 shown]
	v_add3_u32 v4, v10, v11, v4
	v_sub_co_u32 v5, vcc_lo, v5, v9
	v_sub_co_ci_u32_e32 v4, vcc_lo, v6, v4, vcc_lo
	s_waitcnt lgkmcnt(0)
	v_mul_lo_u32 v6, s1, v5
	v_mul_lo_u32 v4, s0, v4
	v_mad_u64_u32 v[1:2], null, s0, v5, v[1:2]
	v_cmp_ge_u64_e64 s0, s[16:17], s[10:11]
	s_and_b32 vcc_lo, exec_lo, s0
	v_add3_u32 v2, v6, v2, v4
	s_cbranch_vccnz .LBB0_9
; %bb.7:                                ;   in Loop: Header=BB0_2 Depth=1
	v_mov_b32_e32 v5, v7
	v_mov_b32_e32 v6, v8
	s_branch .LBB0_2
.LBB0_8:
	v_mov_b32_e32 v8, v6
	v_mov_b32_e32 v7, v5
.LBB0_9:
	s_lshl_b64 s[0:1], s[10:11], 3
	v_and_b32_e32 v89, 15, v0
	s_add_u32 s0, s12, s0
	s_addc_u32 s1, s13, s1
	s_load_dwordx2 s[0:1], s[0:1], 0x0
	s_load_dwordx2 s[4:5], s[4:5], 0x20
	v_or_b32_e32 v82, 16, v89
	v_or_b32_e32 v86, 0x50, v89
	;; [unrolled: 1-line block ×9, first 2 shown]
	s_waitcnt lgkmcnt(0)
	v_mul_lo_u32 v3, s0, v8
	v_mul_lo_u32 v4, s1, v7
	v_mad_u64_u32 v[0:1], null, s0, v7, v[1:2]
	v_cmp_gt_u64_e32 vcc_lo, s[4:5], v[7:8]
	v_cmp_le_u64_e64 s0, s[4:5], v[7:8]
	v_add3_u32 v1, v4, v1, v3
	s_and_saveexec_b32 s1, s0
	s_xor_b32 s0, exec_lo, s1
; %bb.10:
	v_or_b32_e32 v82, 16, v89
	v_or_b32_e32 v86, 0x50, v89
	;; [unrolled: 1-line block ×9, first 2 shown]
; %bb.11:
	s_or_saveexec_b32 s1, s0
	v_lshlrev_b64 v[80:81], 4, v[0:1]
	v_lshlrev_b32_e32 v94, 4, v89
                                        ; implicit-def: $vgpr70_vgpr71
                                        ; implicit-def: $vgpr78_vgpr79
                                        ; implicit-def: $vgpr54_vgpr55
                                        ; implicit-def: $vgpr58_vgpr59
                                        ; implicit-def: $vgpr42_vgpr43
                                        ; implicit-def: $vgpr2_vgpr3
                                        ; implicit-def: $vgpr34_vgpr35
                                        ; implicit-def: $vgpr22_vgpr23
                                        ; implicit-def: $vgpr14_vgpr15
                                        ; implicit-def: $vgpr6_vgpr7
                                        ; implicit-def: $vgpr10_vgpr11
                                        ; implicit-def: $vgpr18_vgpr19
                                        ; implicit-def: $vgpr30_vgpr31
                                        ; implicit-def: $vgpr26_vgpr27
                                        ; implicit-def: $vgpr38_vgpr39
                                        ; implicit-def: $vgpr46_vgpr47
                                        ; implicit-def: $vgpr50_vgpr51
                                        ; implicit-def: $vgpr62_vgpr63
                                        ; implicit-def: $vgpr74_vgpr75
                                        ; implicit-def: $vgpr66_vgpr67
	s_xor_b32 exec_lo, exec_lo, s1
	s_cbranch_execz .LBB0_13
; %bb.12:
	v_add_co_u32 v14, s0, s2, v80
	v_add_co_ci_u32_e64 v15, s0, s3, v81, s0
	v_lshlrev_b32_e32 v0, 4, v90
	v_add_co_u32 v4, s0, v14, v94
	v_or_b32_e32 v2, 0xa00, v94
	v_add_co_ci_u32_e64 v5, s0, 0, v15, s0
	v_add_co_u32 v0, s0, v14, v0
	v_or_b32_e32 v6, 0xc00, v94
	v_add_co_ci_u32_e64 v1, s0, 0, v15, s0
	;; [unrolled: 3-line block ×5, first 2 shown]
	v_add_co_u32 v10, s0, v14, v10
	v_add_co_ci_u32_e64 v11, s0, 0, v15, s0
	v_add_co_u32 v12, s0, v14, v12
	v_add_co_ci_u32_e64 v13, s0, 0, v15, s0
	s_clause 0x5
	global_load_dwordx4 v[60:63], v[0:1], off
	global_load_dwordx4 v[52:55], v[2:3], off
	;; [unrolled: 1-line block ×6, first 2 shown]
	v_lshlrev_b32_e32 v6, 4, v92
	v_or_b32_e32 v8, 0xb00, v94
	v_or_b32_e32 v10, 0xd00, v94
	;; [unrolled: 1-line block ×4, first 2 shown]
	v_add_co_u32 v6, s0, v14, v6
	v_add_co_ci_u32_e64 v7, s0, 0, v15, s0
	v_add_co_u32 v8, s0, v14, v8
	v_add_co_ci_u32_e64 v9, s0, 0, v15, s0
	;; [unrolled: 2-line block ×3, first 2 shown]
	v_add_co_u32 v12, s0, v14, v12
	v_or_b32_e32 v17, 0x1300, v94
	v_add_co_ci_u32_e64 v13, s0, 0, v15, s0
	v_add_co_u32 v95, s0, v14, v16
	v_add_co_ci_u32_e64 v96, s0, 0, v15, s0
	v_add_co_u32 v97, s0, v14, v17
	s_clause 0x1
	global_load_dwordx4 v[64:67], v[4:5], off
	global_load_dwordx4 v[0:3], v[4:5], off offset:256
	v_add_co_ci_u32_e64 v98, s0, 0, v15, s0
	s_clause 0xb
	global_load_dwordx4 v[68:71], v[4:5], off offset:512
	global_load_dwordx4 v[36:39], v[4:5], off offset:768
	;; [unrolled: 1-line block ×6, first 2 shown]
	global_load_dwordx4 v[20:23], v[6:7], off
	global_load_dwordx4 v[28:31], v[8:9], off
	;; [unrolled: 1-line block ×6, first 2 shown]
.LBB0_13:
	s_or_b32 exec_lo, exec_lo, s1
	s_waitcnt vmcnt(9)
	v_add_f64 v[95:96], v[76:77], v[64:65]
	v_add_f64 v[97:98], v[78:79], v[66:67]
	;; [unrolled: 1-line block ×6, first 2 shown]
	v_add_f64 v[107:108], v[78:79], -v[46:47]
	v_add_f64 v[109:110], v[76:77], -v[60:61]
	;; [unrolled: 1-line block ×3, first 2 shown]
	v_add_f64 v[113:114], v[52:53], v[48:49]
	s_waitcnt vmcnt(7)
	v_add_f64 v[115:116], v[40:41], v[72:73]
	v_add_f64 v[117:118], v[54:55], v[50:51]
	;; [unrolled: 1-line block ×3, first 2 shown]
	v_add_f64 v[121:122], v[78:79], -v[62:63]
	v_add_f64 v[78:79], v[62:63], -v[78:79]
	;; [unrolled: 1-line block ×4, first 2 shown]
	v_add_f64 v[127:128], v[70:71], v[74:75]
	v_add_f64 v[129:130], v[56:57], -v[44:45]
	v_add_f64 v[131:132], v[46:47], -v[58:59]
	;; [unrolled: 1-line block ×3, first 2 shown]
	s_mov_b32 s10, 0x134454ff
	v_add_f64 v[60:61], v[60:61], v[95:96]
	v_add_f64 v[62:63], v[62:63], v[97:98]
	v_add_f64 v[95:96], v[44:45], -v[56:57]
	v_add_f64 v[97:98], v[68:69], v[72:73]
	v_fma_f64 v[99:100], v[99:100], -0.5, v[64:65]
	v_fma_f64 v[64:65], v[101:102], -0.5, v[64:65]
	;; [unrolled: 1-line block ×4, first 2 shown]
	v_add_f64 v[103:104], v[72:73], -v[52:53]
	v_add_f64 v[105:106], v[52:53], -v[72:73]
	v_fma_f64 v[113:114], v[113:114], -0.5, v[68:69]
	v_fma_f64 v[68:69], v[115:116], -0.5, v[68:69]
	;; [unrolled: 1-line block ×4, first 2 shown]
	v_add_f64 v[72:73], v[72:73], -v[40:41]
	v_add_f64 v[117:118], v[74:75], -v[54:55]
	;; [unrolled: 1-line block ×4, first 2 shown]
	s_mov_b32 s11, 0x3fee6f0e
	s_mov_b32 s1, 0xbfee6f0e
	;; [unrolled: 1-line block ×3, first 2 shown]
	v_add_f64 v[111:112], v[129:130], v[111:112]
	v_add_f64 v[56:57], v[56:57], v[60:61]
	;; [unrolled: 1-line block ×3, first 2 shown]
	v_add_f64 v[60:61], v[40:41], -v[48:49]
	v_add_f64 v[62:63], v[52:53], v[97:98]
	v_add_f64 v[97:98], v[54:55], v[127:128]
	v_add_f64 v[54:55], v[54:55], -v[50:51]
	v_add_f64 v[127:128], v[48:49], -v[40:41]
	v_add_f64 v[95:96], v[95:96], v[109:110]
	v_add_f64 v[109:110], v[42:43], -v[50:51]
	v_add_f64 v[52:53], v[52:53], -v[48:49]
	;; [unrolled: 1-line block ×3, first 2 shown]
	s_mov_b32 s12, 0x4755a5e
	s_mov_b32 s13, 0x3fe2cf23
	;; [unrolled: 1-line block ×4, first 2 shown]
	v_add_f64 v[76:77], v[76:77], -v[44:45]
	s_mov_b32 s6, 0x372fe950
	s_mov_b32 s7, 0x3fd3c6ef
	v_add_f64 v[78:79], v[119:120], v[78:79]
	v_fma_f64 v[119:120], v[125:126], s[10:11], v[66:67]
	v_fma_f64 v[66:67], v[125:126], s[0:1], v[66:67]
	s_mov_b32 s14, 0x9b97f4a8
	v_add_f64 v[44:45], v[44:45], v[56:57]
	s_mov_b32 s15, 0x3fe9e377
	v_add_f64 v[60:61], v[60:61], v[103:104]
	v_fma_f64 v[103:104], v[72:73], s[0:1], v[115:116]
	v_fma_f64 v[115:116], v[72:73], s[10:11], v[115:116]
	v_add_f64 v[48:49], v[48:49], v[62:63]
	v_add_f64 v[105:106], v[127:128], v[105:106]
	v_fma_f64 v[127:128], v[54:55], s[10:11], v[68:69]
	v_fma_f64 v[68:69], v[54:55], s[0:1], v[68:69]
	v_add_f64 v[109:110], v[109:110], v[117:118]
	v_fma_f64 v[117:118], v[133:134], s[0:1], v[113:114]
	v_fma_f64 v[113:114], v[133:134], s[10:11], v[113:114]
	;; [unrolled: 3-line block ×4, first 2 shown]
	v_add_f64 v[121:122], v[131:132], v[121:122]
	s_waitcnt vmcnt(1)
	v_add_f64 v[131:132], v[16:17], -v[4:5]
	v_fma_f64 v[66:67], v[76:77], s[12:13], v[66:67]
	v_fma_f64 v[103:104], v[52:53], s[4:5], v[103:104]
	;; [unrolled: 1-line block ×3, first 2 shown]
	v_add_f64 v[48:49], v[40:41], v[48:49]
	v_fma_f64 v[127:128], v[133:134], s[4:5], v[127:128]
	v_fma_f64 v[68:69], v[133:134], s[12:13], v[68:69]
	v_add_f64 v[133:134], v[20:21], v[16:17]
	v_fma_f64 v[62:63], v[54:55], s[4:5], v[117:118]
	v_fma_f64 v[54:55], v[54:55], s[12:13], v[113:114]
	;; [unrolled: 1-line block ×8, first 2 shown]
	v_add_f64 v[72:73], v[46:47], v[58:59]
	v_add_f64 v[129:130], v[20:21], -v[24:25]
	v_fma_f64 v[103:104], v[109:110], s[6:7], v[103:104]
	v_fma_f64 v[52:53], v[109:110], s[6:7], v[52:53]
	;; [unrolled: 1-line block ×4, first 2 shown]
	v_add_f64 v[105:106], v[42:43], v[50:51]
	v_fma_f64 v[40:41], v[60:61], s[6:7], v[62:63]
	v_fma_f64 v[42:43], v[123:124], s[12:13], v[97:98]
	;; [unrolled: 1-line block ×9, first 2 shown]
	v_add_f64 v[99:100], v[26:27], -v[6:7]
	v_fma_f64 v[101:102], v[133:134], -0.5, v[0:1]
	v_add_f64 v[107:108], v[4:5], v[24:25]
	v_fma_f64 v[56:57], v[74:75], s[6:7], v[56:57]
	v_add_f64 v[74:75], v[12:13], v[28:29]
	v_fma_f64 v[113:114], v[76:77], s[4:5], v[119:120]
	v_mul_f64 v[64:65], v[103:104], s[12:13]
	s_waitcnt vmcnt(0)
	v_add_f64 v[117:118], v[32:33], v[8:9]
	v_add_f64 v[119:120], v[4:5], -v[16:17]
	v_add_f64 v[125:126], v[22:23], -v[18:19]
	v_mul_f64 v[97:98], v[127:128], s[6:7]
	v_mul_f64 v[109:110], v[46:47], s[6:7]
	;; [unrolled: 1-line block ×4, first 2 shown]
	v_fma_f64 v[76:77], v[95:96], s[6:7], v[42:43]
	v_mul_f64 v[42:43], v[54:55], s[4:5]
	v_fma_f64 v[95:96], v[95:96], s[6:7], v[50:51]
	v_fma_f64 v[58:59], v[111:112], s[6:7], v[58:59]
	;; [unrolled: 1-line block ×3, first 2 shown]
	v_mul_f64 v[50:51], v[62:63], s[6:7]
	v_add_f64 v[111:112], v[24:25], -v[20:21]
	v_fma_f64 v[68:69], v[121:122], s[6:7], v[68:69]
	v_fma_f64 v[121:122], v[121:122], s[6:7], v[70:71]
	v_fma_f64 v[123:124], v[99:100], s[10:11], v[101:102]
	v_fma_f64 v[101:102], v[99:100], s[0:1], v[101:102]
	v_fma_f64 v[107:108], v[107:108], -0.5, v[0:1]
	v_fma_f64 v[74:75], v[74:75], -0.5, v[36:37]
	v_fma_f64 v[113:114], v[78:79], s[6:7], v[113:114]
	v_fma_f64 v[54:55], v[54:55], s[14:15], v[64:65]
	v_mul_f64 v[64:65], v[52:53], s[14:15]
	v_fma_f64 v[78:79], v[78:79], s[6:7], v[66:67]
	v_add_f64 v[0:1], v[0:1], v[24:25]
	v_fma_f64 v[62:63], v[62:63], s[10:11], -v[97:98]
	v_add_f64 v[97:98], v[34:35], -v[10:11]
	v_fma_f64 v[109:110], v[56:57], s[10:11], v[109:110]
	v_fma_f64 v[115:116], v[52:53], s[12:13], -v[115:116]
	v_fma_f64 v[52:53], v[117:118], -0.5, v[36:37]
	v_add_f64 v[117:118], v[30:31], -v[14:15]
	v_fma_f64 v[103:104], v[103:104], s[14:15], v[42:43]
	v_add_f64 v[42:43], v[14:15], v[30:31]
	v_fma_f64 v[133:134], v[56:57], s[6:7], v[46:47]
	v_fma_f64 v[127:128], v[127:128], s[0:1], -v[50:51]
	v_add_f64 v[46:47], v[32:33], -v[28:29]
	v_add_f64 v[50:51], v[8:9], -v[12:13]
	v_fma_f64 v[66:67], v[125:126], s[12:13], v[123:124]
	v_fma_f64 v[70:71], v[125:126], s[4:5], v[101:102]
	v_add_f64 v[101:102], v[28:29], -v[32:33]
	v_add_f64 v[123:124], v[32:33], -v[8:9]
	v_add_f64 v[32:33], v[32:33], v[36:37]
	v_fma_f64 v[135:136], v[40:41], s[4:5], -v[64:65]
	v_add_f64 v[64:65], v[119:120], v[111:112]
	v_fma_f64 v[40:41], v[125:126], s[0:1], v[107:108]
	v_add_f64 v[111:112], v[12:13], -v[8:9]
	v_fma_f64 v[56:57], v[97:98], s[10:11], v[74:75]
	v_fma_f64 v[74:75], v[97:98], s[0:1], v[74:75]
	v_fma_f64 v[107:108], v[125:126], s[10:11], v[107:108]
	v_add_f64 v[125:126], v[131:132], v[129:130]
	v_fma_f64 v[119:120], v[117:118], s[0:1], v[52:53]
	v_fma_f64 v[52:53], v[117:118], s[10:11], v[52:53]
	v_fma_f64 v[42:43], v[42:43], -0.5, v[38:39]
	v_add_f64 v[129:130], v[34:35], v[10:11]
	v_add_f64 v[131:132], v[14:15], -v[10:11]
	v_add_f64 v[0:1], v[20:21], v[0:1]
	v_add_f64 v[46:47], v[50:51], v[46:47]
	v_fma_f64 v[36:37], v[99:100], s[12:13], v[40:41]
	v_add_f64 v[40:41], v[48:49], v[44:45]
	v_fma_f64 v[50:51], v[117:118], s[12:13], v[56:57]
	v_fma_f64 v[56:57], v[117:118], s[4:5], v[74:75]
	v_add_f64 v[74:75], v[111:112], v[101:102]
	v_add_f64 v[111:112], v[10:11], -v[14:15]
	v_fma_f64 v[101:102], v[97:98], s[12:13], v[119:120]
	v_fma_f64 v[52:53], v[97:98], s[4:5], v[52:53]
	v_add_f64 v[97:98], v[34:35], -v[30:31]
	v_fma_f64 v[117:118], v[123:124], s[0:1], v[42:43]
	v_add_f64 v[119:120], v[28:29], -v[12:13]
	v_fma_f64 v[42:43], v[123:124], s[10:11], v[42:43]
	v_fma_f64 v[129:130], v[129:130], -0.5, v[38:39]
	v_add_f64 v[28:29], v[28:29], v[32:33]
	v_add_f64 v[0:1], v[16:17], v[0:1]
	v_fma_f64 v[32:33], v[46:47], s[6:7], v[50:51]
	v_fma_f64 v[139:140], v[46:47], s[6:7], v[56:57]
	v_add_f64 v[46:47], v[44:45], -v[48:49]
	v_add_f64 v[48:49], v[76:77], -v[54:55]
	v_add_f64 v[50:51], v[58:59], -v[109:110]
	v_fma_f64 v[137:138], v[74:75], s[6:7], v[52:53]
	v_add_f64 v[97:98], v[111:112], v[97:98]
	v_add_f64 v[52:53], v[58:59], v[109:110]
	v_fma_f64 v[111:112], v[119:120], s[4:5], v[117:118]
	v_fma_f64 v[117:118], v[119:120], s[12:13], v[42:43]
	;; [unrolled: 1-line block ×4, first 2 shown]
	v_add_f64 v[129:130], v[30:31], -v[34:35]
	v_add_f64 v[44:45], v[95:96], v[115:116]
	v_add_f64 v[58:59], v[95:96], -v[115:116]
	v_add_f64 v[12:13], v[12:13], v[28:29]
	v_add_f64 v[56:57], v[60:61], -v[62:63]
	v_fma_f64 v[109:110], v[64:65], s[6:7], v[70:71]
	v_add_f64 v[0:1], v[4:5], v[0:1]
	v_add_f64 v[70:71], v[78:79], v[127:128]
	v_add_f64 v[4:5], v[24:25], -v[4:5]
	v_add_f64 v[24:25], v[22:23], -v[26:27]
	v_mul_f64 v[28:29], v[32:33], s[14:15]
	v_mul_f64 v[95:96], v[137:138], s[6:7]
	v_fma_f64 v[111:112], v[97:98], s[6:7], v[111:112]
	v_fma_f64 v[117:118], v[97:98], s[6:7], v[117:118]
	v_mul_f64 v[97:98], v[139:140], s[14:15]
	v_fma_f64 v[119:120], v[123:124], s[12:13], v[119:120]
	v_add_f64 v[129:130], v[131:132], v[129:130]
	v_fma_f64 v[131:132], v[123:124], s[4:5], v[42:43]
	v_fma_f64 v[123:124], v[74:75], s[6:7], v[101:102]
	;; [unrolled: 1-line block ×3, first 2 shown]
	v_add_f64 v[42:43], v[76:77], v[54:55]
	v_add_f64 v[54:55], v[60:61], v[62:63]
	v_add_f64 v[60:61], v[105:106], v[72:73]
	v_add_f64 v[8:9], v[8:9], v[12:13]
	v_fma_f64 v[99:100], v[64:65], s[6:7], v[66:67]
	v_fma_f64 v[101:102], v[125:126], s[6:7], v[36:37]
	v_add_f64 v[62:63], v[68:69], v[103:104]
	v_add_f64 v[64:65], v[68:69], -v[103:104]
	v_add_f64 v[66:67], v[113:114], -v[133:134]
	v_add_f64 v[68:69], v[113:114], v[133:134]
	v_fma_f64 v[12:13], v[111:112], s[12:13], v[28:29]
	v_fma_f64 v[113:114], v[117:118], s[12:13], -v[97:98]
	v_fma_f64 v[119:120], v[129:130], s[6:7], v[119:120]
	v_fma_f64 v[115:116], v[129:130], s[6:7], v[131:132]
	v_mul_f64 v[76:77], v[123:124], s[6:7]
	v_fma_f64 v[107:108], v[125:126], s[6:7], v[74:75]
	v_add_f64 v[74:75], v[72:73], -v[105:106]
	v_add_f64 v[72:73], v[121:122], v[135:136]
	v_add_f64 v[129:130], v[34:35], v[38:39]
	;; [unrolled: 1-line block ×3, first 2 shown]
	v_add_f64 v[105:106], v[0:1], -v[8:9]
	v_add_f64 v[0:1], v[2:3], v[26:27]
	v_add_f64 v[38:39], v[99:100], v[12:13]
	;; [unrolled: 1-line block ×3, first 2 shown]
	v_add_f64 v[109:110], v[109:110], -v[113:114]
	v_fma_f64 v[125:126], v[119:120], s[10:11], -v[95:96]
	v_add_f64 v[95:96], v[99:100], -v[12:13]
	v_fma_f64 v[28:29], v[115:116], s[10:11], v[76:77]
	v_add_f64 v[76:77], v[78:79], -v[127:128]
	v_add_f64 v[78:79], v[121:122], -v[135:136]
	v_add_f64 v[121:122], v[22:23], v[18:19]
	v_add_f64 v[127:128], v[6:7], v[26:27]
	v_mul_u32_u24_e32 v12, 0x140, v91
	v_add_f64 v[0:1], v[22:23], v[0:1]
	v_lshlrev_b32_e32 v35, 3, v12
	v_add_f64 v[12:13], v[20:21], -v[16:17]
	v_mul_u32_u24_e32 v16, 10, v89
	v_add_f64 v[20:21], v[26:27], -v[22:23]
	v_add_f64 v[22:23], v[6:7], -v[18:19]
	v_add_nc_u32_e32 v34, 0, v35
	v_lshl_add_u32 v91, v16, 3, v34
	v_add_f64 v[16:17], v[30:31], v[129:130]
	v_add_f64 v[97:98], v[101:102], -v[28:29]
	v_add_f64 v[99:100], v[101:102], v[28:29]
	v_add_f64 v[28:29], v[18:19], -v[6:7]
	v_fma_f64 v[8:9], v[121:122], -0.5, v[2:3]
	v_fma_f64 v[2:3], v[127:128], -0.5, v[2:3]
	v_add_f64 v[101:102], v[107:108], v[125:126]
	ds_write_b128 v91, v[40:43]
	v_add_f64 v[0:1], v[18:19], v[0:1]
	v_mul_i32_i24_e32 v40, 10, v82
	ds_write_b128 v91, v[52:55] offset:16
	v_add_f64 v[107:108], v[107:108], -v[125:126]
	v_lshl_add_u32 v42, v86, 3, v34
	v_lshl_add_u32 v40, v40, 3, v34
	ds_write_b128 v91, v[44:47] offset:32
	ds_write_b128 v91, v[48:51] offset:48
	;; [unrolled: 1-line block ×3, first 2 shown]
	ds_write_b128 v40, v[36:39]
	ds_write_b128 v40, v[99:102] offset:16
	v_add_f64 v[14:15], v[14:15], v[16:17]
	v_fma_f64 v[26:27], v[4:5], s[0:1], v[8:9]
	v_fma_f64 v[30:31], v[12:13], s[10:11], v[2:3]
	;; [unrolled: 1-line block ×4, first 2 shown]
	v_add_f64 v[16:17], v[22:23], v[20:21]
	v_mul_f64 v[22:23], v[32:33], s[4:5]
	v_add_f64 v[20:21], v[28:29], v[24:25]
	ds_write_b128 v40, v[103:106] offset:32
	ds_write_b128 v40, v[95:98] offset:48
	v_lshlrev_b32_e32 v36, 3, v89
	v_lshl_add_u32 v44, v87, 3, v34
	v_lshl_add_u32 v46, v83, 3, v34
	;; [unrolled: 1-line block ×4, first 2 shown]
	v_add_nc_u32_e32 v41, v34, v36
	v_lshl_add_u32 v49, v90, 3, v34
	v_lshl_add_u32 v50, v85, 3, v34
	;; [unrolled: 1-line block ×3, first 2 shown]
	v_add_f64 v[33:34], v[6:7], v[0:1]
	v_add3_u32 v43, 0, v36, v35
	v_mad_i32_i24 v45, 0xffffffb8, v82, v40
	ds_write_b128 v40, v[107:110] offset:64
	v_add_f64 v[57:58], v[10:11], v[14:15]
	v_fma_f64 v[18:19], v[12:13], s[4:5], v[26:27]
	v_fma_f64 v[24:25], v[4:5], s[4:5], v[30:31]
	v_mul_f64 v[26:27], v[123:124], s[0:1]
	v_fma_f64 v[2:3], v[4:5], s[12:13], v[2:3]
	v_mul_f64 v[4:5], v[119:120], s[6:7]
	;; [unrolled: 2-line block ×3, first 2 shown]
	v_fma_f64 v[103:104], v[111:112], s[14:15], v[22:23]
	s_waitcnt lgkmcnt(0)
	s_barrier
	buffer_gl0_inv
	v_add_nc_u32_e32 v52, 0x800, v43
	v_add_f64 v[99:100], v[33:34], v[57:58]
	v_fma_f64 v[18:19], v[16:17], s[6:7], v[18:19]
	v_fma_f64 v[105:106], v[20:21], s[6:7], v[24:25]
	;; [unrolled: 1-line block ×4, first 2 shown]
	v_fma_f64 v[119:120], v[137:138], s[0:1], -v[4:5]
	v_fma_f64 v[121:122], v[16:17], s[6:7], v[12:13]
	v_fma_f64 v[31:32], v[139:140], s[4:5], -v[31:32]
	v_cmp_gt_u32_e64 s0, 10, v89
	ds_read_b64 v[8:9], v41
	ds_read_b64 v[29:30], v42
	;; [unrolled: 1-line block ×10, first 2 shown]
	ds_read2_b64 v[36:39], v43 offset0:160 offset1:176
	ds_read2_b64 v[0:3], v43 offset0:224 offset1:240
	ds_read2_b64 v[53:56], v52 offset1:16
	ds_read2_b64 v[4:7], v43 offset0:192 offset1:208
	ds_read2_b64 v[95:98], v52 offset0:32 offset1:48
	s_waitcnt lgkmcnt(0)
	s_barrier
	buffer_gl0_inv
	v_add_f64 v[113:114], v[33:34], -v[57:58]
	ds_write_b128 v91, v[60:63]
	v_mov_b32_e32 v20, 0
	ds_write_b128 v91, v[68:71] offset:16
	ds_write_b128 v91, v[72:75] offset:32
	;; [unrolled: 1-line block ×3, first 2 shown]
	v_and_b32_e32 v73, 0xff, v84
	v_add_f64 v[101:102], v[18:19], v[103:104]
	v_add_f64 v[103:104], v[18:19], -v[103:104]
	v_and_b32_e32 v18, 0xff, v82
	v_add_nc_u32_e32 v19, -10, v89
	v_add_f64 v[107:108], v[105:106], v[115:116]
	v_add_f64 v[109:110], v[117:118], v[119:120]
	;; [unrolled: 1-line block ×3, first 2 shown]
	v_mul_lo_u16 v18, 0xcd, v18
	v_cndmask_b32_e64 v93, v19, v89, s0
	v_add_f64 v[57:58], v[117:118], -v[119:120]
	v_add_f64 v[59:60], v[121:122], -v[31:32]
	;; [unrolled: 1-line block ×3, first 2 shown]
	v_lshrrev_b16 v32, 11, v18
	v_mul_i32_i24_e32 v19, 3, v93
	v_mov_b32_e32 v18, 3
	ds_write_b128 v91, v[76:79] offset:64
	ds_write_b128 v40, v[99:102]
	v_mul_lo_u16 v31, v32, 10
	v_lshlrev_b64 v[33:34], 4, v[19:20]
	ds_write_b128 v40, v[107:110] offset:16
	ds_write_b128 v40, v[111:114] offset:32
	;; [unrolled: 1-line block ×3, first 2 shown]
	v_sub_nc_u16 v31, v82, v31
	v_add_co_u32 v33, s0, s8, v33
	v_add_co_ci_u32_e64 v34, s0, s9, v34, s0
	v_mul_u32_u24_sdwa v19, v31, v18 dst_sel:DWORD dst_unused:UNUSED_PAD src0_sel:BYTE_0 src1_sel:DWORD
	ds_write_b128 v40, v[57:60] offset:64
	s_waitcnt lgkmcnt(0)
	s_barrier
	buffer_gl0_inv
	v_lshlrev_b32_e32 v19, 4, v19
	s_clause 0x2
	global_load_dwordx4 v[57:60], v[33:34], off offset:16
	global_load_dwordx4 v[61:64], v19, s[8:9] offset:16
	global_load_dwordx4 v[65:68], v19, s[8:9] offset:32
	v_and_b32_e32 v40, 0xff, v83
	v_mul_lo_u16 v73, 0xcd, v73
	v_cmp_lt_u32_e64 s0, 9, v89
	v_mul_lo_u16 v40, 0xcd, v40
	v_lshrrev_b16 v129, 11, v73
	v_lshrrev_b16 v40, 11, v40
	v_mul_lo_u16 v73, v129, 10
	v_mul_lo_u16 v69, v40, 10
	v_sub_nc_u16 v130, v84, v73
	v_and_b32_e32 v73, 0xff, v85
	v_sub_nc_u16 v79, v83, v69
	v_mul_u32_u24_sdwa v74, v130, v18 dst_sel:DWORD dst_unused:UNUSED_PAD src0_sel:BYTE_0 src1_sel:DWORD
	v_mul_lo_u16 v73, 0xcd, v73
	v_mul_u32_u24_sdwa v69, v79, v18 dst_sel:DWORD dst_unused:UNUSED_PAD src0_sel:BYTE_0 src1_sel:DWORD
	v_lshlrev_b32_e32 v131, 4, v74
	v_lshrrev_b16 v132, 11, v73
	v_lshlrev_b32_sdwa v79, v18, v79 dst_sel:DWORD dst_unused:UNUSED_PAD src0_sel:DWORD src1_sel:BYTE_0
	v_lshlrev_b32_e32 v91, 4, v69
	global_load_dwordx4 v[73:76], v131, s[8:9] offset:32
	v_mul_lo_u16 v77, v132, 10
	global_load_dwordx4 v[69:72], v91, s[8:9] offset:32
	v_sub_nc_u16 v133, v85, v77
	v_mul_u32_u24_sdwa v77, v133, v18 dst_sel:DWORD dst_unused:UNUSED_PAD src0_sel:BYTE_0 src1_sel:DWORD
	v_lshlrev_b32_e32 v134, 4, v77
	s_clause 0x3
	global_load_dwordx4 v[99:102], v134, s[8:9] offset:32
	global_load_dwordx4 v[103:106], v[33:34], off
	global_load_dwordx4 v[107:110], v19, s[8:9]
	global_load_dwordx4 v[111:114], v91, s[8:9]
	ds_read2_b64 v[115:118], v43 offset0:160 offset1:176
	global_load_dwordx4 v[119:122], v131, s[8:9]
	v_and_b32_e32 v19, 0xffff, v129
	s_waitcnt vmcnt(9) lgkmcnt(0)
	v_mul_f64 v[77:78], v[115:116], v[59:60]
	v_mul_f64 v[59:60], v[36:37], v[59:60]
	s_waitcnt vmcnt(8)
	v_mul_f64 v[123:124], v[117:118], v[63:64]
	v_mul_f64 v[63:64], v[38:39], v[63:64]
	v_fma_f64 v[77:78], v[36:37], v[57:58], -v[77:78]
	v_fma_f64 v[115:116], v[115:116], v[57:58], v[59:60]
	global_load_dwordx4 v[57:60], v91, s[8:9] offset:16
	v_fma_f64 v[123:124], v[38:39], v[61:62], -v[123:124]
	ds_read2_b64 v[36:39], v52 offset1:16
	v_fma_f64 v[117:118], v[117:118], v[61:62], v[63:64]
	global_load_dwordx4 v[61:64], v[33:34], off offset:32
	s_waitcnt vmcnt(9) lgkmcnt(0)
	v_mul_f64 v[33:34], v[36:37], v[67:68]
	v_mul_f64 v[67:68], v[53:54], v[67:68]
	v_fma_f64 v[33:34], v[53:54], v[65:66], -v[33:34]
	v_fma_f64 v[53:54], v[36:37], v[65:66], v[67:68]
	global_load_dwordx4 v[65:68], v134, s[8:9]
	s_waitcnt vmcnt(8)
	v_mul_f64 v[36:37], v[38:39], v[71:72]
	v_fma_f64 v[125:126], v[55:56], v[69:70], -v[36:37]
	v_mul_f64 v[36:37], v[55:56], v[71:72]
	v_mul_f64 v[71:72], v[95:96], v[75:76]
	v_fma_f64 v[55:56], v[38:39], v[69:70], v[36:37]
	ds_read2_b64 v[36:39], v52 offset0:32 offset1:48
	s_waitcnt lgkmcnt(0)
	v_mul_f64 v[69:70], v[36:37], v[75:76]
	s_waitcnt vmcnt(7)
	v_mul_f64 v[75:76], v[38:39], v[101:102]
	v_fma_f64 v[71:72], v[36:37], v[73:74], v[71:72]
	v_mul_f64 v[36:37], v[97:98], v[101:102]
	s_waitcnt vmcnt(6)
	v_mul_f64 v[101:102], v[29:30], v[105:106]
	v_fma_f64 v[69:70], v[95:96], v[73:74], -v[69:70]
	ds_read_b64 v[73:74], v42
	v_fma_f64 v[75:76], v[97:98], v[99:100], -v[75:76]
	ds_read_b64 v[95:96], v45
	ds_read_b64 v[97:98], v41
	v_fma_f64 v[99:100], v[38:39], v[99:100], v[36:37]
	ds_read_b64 v[38:39], v44
	s_waitcnt lgkmcnt(3)
	v_mul_f64 v[36:37], v[73:74], v[105:106]
	v_fma_f64 v[73:74], v[73:74], v[103:104], v[101:102]
	s_waitcnt vmcnt(5) lgkmcnt(0)
	v_mul_f64 v[105:106], v[38:39], v[109:110]
	v_fma_f64 v[29:30], v[29:30], v[103:104], -v[36:37]
	v_mul_f64 v[36:37], v[25:26], v[109:110]
	ds_read_b64 v[101:102], v47
	ds_read_b64 v[103:104], v48
	;; [unrolled: 1-line block ×4, first 2 shown]
	v_fma_f64 v[105:106], v[25:26], v[107:108], -v[105:106]
	s_waitcnt vmcnt(4) lgkmcnt(3)
	v_mul_f64 v[25:26], v[101:102], v[113:114]
	v_fma_f64 v[107:108], v[38:39], v[107:108], v[36:37]
	v_mul_f64 v[36:37], v[27:28], v[113:114]
	s_waitcnt vmcnt(3) lgkmcnt(0)
	v_mul_f64 v[38:39], v[127:128], v[121:122]
	v_mul_f64 v[121:122], v[23:24], v[121:122]
	v_fma_f64 v[113:114], v[27:28], v[111:112], -v[25:26]
	ds_read2_b64 v[25:28], v43 offset0:192 offset1:208
	v_fma_f64 v[101:102], v[101:102], v[111:112], v[36:37]
	v_fma_f64 v[23:24], v[23:24], v[119:120], -v[38:39]
	v_fma_f64 v[111:112], v[127:128], v[119:120], v[121:122]
	ds_read2_b64 v[36:39], v43 offset0:224 offset1:240
	v_lshlrev_b32_sdwa v127, v18, v31 dst_sel:DWORD dst_unused:UNUSED_PAD src0_sel:DWORD src1_sel:BYTE_0
	s_waitcnt vmcnt(2) lgkmcnt(1)
	v_mul_f64 v[119:120], v[25:26], v[59:60]
	v_mul_f64 v[59:60], v[4:5], v[59:60]
	s_waitcnt vmcnt(1) lgkmcnt(0)
	v_mul_f64 v[121:122], v[38:39], v[63:64]
	v_fma_f64 v[119:120], v[4:5], v[57:58], -v[119:120]
	v_mul_f64 v[4:5], v[2:3], v[63:64]
	v_fma_f64 v[25:26], v[25:26], v[57:58], v[59:60]
	ds_read_b64 v[57:58], v51
	v_fma_f64 v[59:60], v[2:3], v[61:62], -v[121:122]
	v_mad_u32_u24 v121, 0x140, v19, 0
	v_fma_f64 v[38:39], v[38:39], v[61:62], v[4:5]
	ds_read_b64 v[61:62], v50
	s_waitcnt vmcnt(0) lgkmcnt(1)
	v_mul_f64 v[2:3], v[57:58], v[67:68]
	v_add_f64 v[25:26], v[109:110], -v[25:26]
	v_fma_f64 v[63:64], v[21:22], v[65:66], -v[2:3]
	v_mul_f64 v[2:3], v[21:22], v[67:68]
	v_fma_f64 v[21:22], v[57:58], v[65:66], v[2:3]
	global_load_dwordx4 v[2:5], v131, s[8:9] offset:16
	s_waitcnt vmcnt(0)
	v_mul_f64 v[57:58], v[27:28], v[4:5]
	v_mul_f64 v[65:66], v[6:7], v[4:5]
	v_fma_f64 v[57:58], v[6:7], v[2:3], -v[57:58]
	global_load_dwordx4 v[4:7], v134, s[8:9] offset:16
	v_fma_f64 v[2:3], v[27:28], v[2:3], v[65:66]
	v_add_f64 v[27:28], v[10:11], -v[123:124]
	s_waitcnt vmcnt(0) lgkmcnt(0)
	s_barrier
	buffer_gl0_inv
	v_add_f64 v[57:58], v[14:15], -v[57:58]
	v_add_f64 v[2:3], v[103:104], -v[2:3]
	v_fma_f64 v[10:11], v[10:11], 2.0, -v[27:28]
	v_fma_f64 v[14:15], v[14:15], 2.0, -v[57:58]
	;; [unrolled: 1-line block ×3, first 2 shown]
	v_mul_f64 v[67:68], v[36:37], v[6:7]
	v_fma_f64 v[67:68], v[0:1], v[4:5], -v[67:68]
	v_mul_f64 v[0:1], v[0:1], v[6:7]
	v_cndmask_b32_e64 v6, 0, 0x140, s0
	v_lshlrev_b32_e32 v7, 3, v93
	v_add_nc_u32_e32 v6, 0, v6
	v_add3_u32 v91, v6, v7, v35
	v_and_b32_e32 v6, 0xffff, v32
	v_and_b32_e32 v7, 0xffff, v40
	;; [unrolled: 1-line block ×3, first 2 shown]
	v_mad_u32_u24 v40, 0x140, v6, 0
	v_mad_u32_u24 v93, 0x140, v7, 0
	v_mad_u32_u24 v122, 0x140, v32, 0
	v_add_f64 v[6:7], v[29:30], -v[59:60]
	v_add_f64 v[31:32], v[105:106], -v[33:34]
	v_fma_f64 v[0:1], v[36:37], v[4:5], v[0:1]
	v_add_f64 v[4:5], v[8:9], -v[77:78]
	v_add_f64 v[33:34], v[12:13], -v[119:120]
	v_lshlrev_b32_sdwa v119, v18, v130 dst_sel:DWORD dst_unused:UNUSED_PAD src0_sel:DWORD src1_sel:BYTE_0
	v_lshlrev_b32_sdwa v120, v18, v133 dst_sel:DWORD dst_unused:UNUSED_PAD src0_sel:DWORD src1_sel:BYTE_0
	v_add_f64 v[18:19], v[73:74], -v[38:39]
	v_add_f64 v[38:39], v[107:108], -v[53:54]
	;; [unrolled: 1-line block ×11, first 2 shown]
	v_add3_u32 v79, v93, v79, v35
	v_add3_u32 v93, v121, v119, v35
	;; [unrolled: 1-line block ×4, first 2 shown]
	v_fma_f64 v[29:30], v[29:30], 2.0, -v[6:7]
	v_fma_f64 v[77:78], v[105:106], 2.0, -v[31:32]
	v_add_f64 v[0:1], v[61:62], -v[0:1]
	v_fma_f64 v[8:9], v[8:9], 2.0, -v[4:5]
	v_fma_f64 v[12:13], v[12:13], 2.0, -v[33:34]
	v_add_f64 v[105:106], v[4:5], -v[18:19]
	v_fma_f64 v[18:19], v[73:74], 2.0, -v[18:19]
	v_fma_f64 v[73:74], v[97:98], 2.0, -v[55:56]
	;; [unrolled: 1-line block ×3, first 2 shown]
	v_add_f64 v[113:114], v[27:28], -v[38:39]
	v_fma_f64 v[38:39], v[107:108], 2.0, -v[38:39]
	v_fma_f64 v[95:96], v[95:96], 2.0, -v[75:76]
	;; [unrolled: 1-line block ×9, first 2 shown]
	v_add_f64 v[69:70], v[57:58], -v[69:70]
	v_add_f64 v[109:110], v[55:56], v[6:7]
	v_fma_f64 v[61:62], v[61:62], 2.0, -v[0:1]
	v_add_f64 v[29:30], v[8:9], -v[29:30]
	v_add_f64 v[77:78], v[10:11], -v[77:78]
	v_add_f64 v[71:72], v[65:66], -v[71:72]
	v_add_f64 v[111:112], v[75:76], v[31:32]
	v_add_f64 v[53:54], v[33:34], -v[53:54]
	v_add_f64 v[115:116], v[25:26], v[36:37]
	v_add_f64 v[59:60], v[2:3], v[59:60]
	v_add_f64 v[18:19], v[73:74], -v[18:19]
	v_add_f64 v[99:100], v[12:13], -v[99:100]
	v_add_f64 v[67:68], v[0:1], v[67:68]
	v_fma_f64 v[4:5], v[4:5], 2.0, -v[105:106]
	v_add_f64 v[117:118], v[95:96], -v[38:39]
	v_fma_f64 v[6:7], v[27:28], 2.0, -v[113:114]
	v_add_f64 v[97:98], v[107:108], -v[97:98]
	v_add_f64 v[23:24], v[14:15], -v[23:24]
	;; [unrolled: 1-line block ×4, first 2 shown]
	v_fma_f64 v[27:28], v[57:58], 2.0, -v[69:70]
	v_fma_f64 v[57:58], v[55:56], 2.0, -v[109:110]
	v_add_f64 v[119:120], v[61:62], -v[21:22]
	v_fma_f64 v[8:9], v[8:9], 2.0, -v[29:30]
	v_fma_f64 v[10:11], v[10:11], 2.0, -v[77:78]
	;; [unrolled: 1-line block ×6, first 2 shown]
	ds_write2_b64 v91, v[29:30], v[105:106] offset0:20 offset1:30
	v_fma_f64 v[73:74], v[73:74], 2.0, -v[18:19]
	v_fma_f64 v[12:13], v[12:13], 2.0, -v[99:100]
	;; [unrolled: 1-line block ×9, first 2 shown]
	ds_write2_b64 v91, v[8:9], v[4:5] offset1:10
	ds_write2_b64 v40, v[10:11], v[6:7] offset1:10
	ds_write2_b64 v40, v[77:78], v[113:114] offset0:20 offset1:30
	ds_write2_b64 v79, v[12:13], v[21:22] offset1:10
	ds_write2_b64 v79, v[99:100], v[53:54] offset0:20 offset1:30
	;; [unrolled: 2-line block ×4, first 2 shown]
	v_fma_f64 v[61:62], v[61:62], 2.0, -v[119:120]
	s_waitcnt lgkmcnt(0)
	s_barrier
	buffer_gl0_inv
	ds_read_b64 v[12:13], v41
	ds_read_b64 v[33:34], v42
	;; [unrolled: 1-line block ×10, first 2 shown]
	ds_read2_b64 v[36:39], v43 offset0:160 offset1:176
	ds_read2_b64 v[0:3], v43 offset0:224 offset1:240
	ds_read2_b64 v[53:56], v52 offset1:16
	ds_read2_b64 v[4:7], v43 offset0:192 offset1:208
	ds_read2_b64 v[8:11], v52 offset0:32 offset1:48
	s_waitcnt lgkmcnt(0)
	s_barrier
	buffer_gl0_inv
	ds_write2_b64 v91, v[73:74], v[57:58] offset1:10
	ds_write2_b64 v91, v[18:19], v[109:110] offset0:20 offset1:30
	ds_write2_b64 v40, v[95:96], v[65:66] offset1:10
	ds_write2_b64 v40, v[117:118], v[111:112] offset0:20 offset1:30
	ds_write2_b64 v79, v[105:106], v[75:76] offset1:10
	v_mul_u32_u24_e32 v18, 3, v89
	ds_write2_b64 v79, v[97:98], v[115:116] offset0:20 offset1:30
	ds_write2_b64 v93, v[103:104], v[121:122] offset1:10
	ds_write2_b64 v93, v[101:102], v[59:60] offset0:20 offset1:30
	ds_write2_b64 v125, v[61:62], v[123:124] offset1:10
	v_lshlrev_b32_e32 v40, 4, v18
	ds_write2_b64 v125, v[119:120], v[67:68] offset0:20 offset1:30
	s_waitcnt lgkmcnt(0)
	s_barrier
	buffer_gl0_inv
	global_load_dwordx4 v[57:60], v40, s[8:9] offset:496
	v_mul_i32_i24_e32 v19, 3, v82
	v_lshlrev_b64 v[18:19], 4, v[19:20]
	v_add_co_u32 v77, s0, s8, v18
	v_add_co_ci_u32_e64 v78, s0, s9, v19, s0
	v_add_nc_u32_e32 v18, -8, v89
	v_cmp_gt_u32_e64 s0, 40, v83
	v_add_nc_u32_e32 v89, 0x400, v43
	global_load_dwordx4 v[61:64], v[77:78], off offset:496
	v_cndmask_b32_e64 v18, v18, v83, s0
	v_mul_i32_i24_e32 v19, 3, v18
	v_lshlrev_b32_e32 v79, 3, v18
	v_lshlrev_b64 v[65:66], 4, v[19:20]
	v_add_co_u32 v123, s0, s8, v65
	v_add_co_ci_u32_e64 v124, s0, s9, v66, s0
	s_clause 0x8
	global_load_dwordx4 v[65:68], v[77:78], off offset:512
	global_load_dwordx4 v[69:72], v[123:124], off offset:512
	global_load_dwordx4 v[73:76], v40, s[8:9] offset:896
	global_load_dwordx4 v[95:98], v40, s[8:9] offset:1664
	;; [unrolled: 1-line block ×3, first 2 shown]
	global_load_dwordx4 v[103:106], v[77:78], off offset:480
	global_load_dwordx4 v[107:110], v[123:124], off offset:480
	global_load_dwordx4 v[111:114], v40, s[8:9] offset:864
	global_load_dwordx4 v[115:118], v40, s[8:9] offset:512
	ds_read2_b64 v[119:122], v43 offset0:160 offset1:176
	s_clause 0x2
	global_load_dwordx4 v[123:126], v[123:124], off offset:496
	global_load_dwordx4 v[127:130], v40, s[8:9] offset:880
	global_load_dwordx4 v[131:134], v40, s[8:9] offset:1648
	v_cmp_lt_u32_e64 s0, 39, v83
	v_cndmask_b32_e64 v19, 0, 0x500, s0
	s_waitcnt vmcnt(13) lgkmcnt(0)
	v_mul_f64 v[77:78], v[119:120], v[59:60]
	v_mul_f64 v[59:60], v[36:37], v[59:60]
	v_fma_f64 v[77:78], v[36:37], v[57:58], -v[77:78]
	v_fma_f64 v[119:120], v[119:120], v[57:58], v[59:60]
	global_load_dwordx4 v[57:60], v40, s[8:9] offset:1632
	s_waitcnt vmcnt(13)
	v_mul_f64 v[36:37], v[121:122], v[63:64]
	v_add_nc_u32_e32 v40, 0, v19
	v_add3_u32 v79, v40, v79, v35
	v_fma_f64 v[135:136], v[38:39], v[61:62], -v[36:37]
	v_mul_f64 v[36:37], v[38:39], v[63:64]
	v_fma_f64 v[61:62], v[121:122], v[61:62], v[36:37]
	ds_read2_b64 v[36:39], v52 offset1:16
	s_waitcnt vmcnt(12) lgkmcnt(0)
	v_mul_f64 v[63:64], v[36:37], v[67:68]
	v_mul_f64 v[67:68], v[53:54], v[67:68]
	s_waitcnt vmcnt(11)
	v_mul_f64 v[121:122], v[38:39], v[71:72]
	v_fma_f64 v[63:64], v[53:54], v[65:66], -v[63:64]
	v_fma_f64 v[36:37], v[36:37], v[65:66], v[67:68]
	v_mul_f64 v[65:66], v[55:56], v[71:72]
	v_fma_f64 v[67:68], v[55:56], v[69:70], -v[121:122]
	ds_read2_b64 v[53:56], v52 offset0:32 offset1:48
	s_waitcnt vmcnt(10) lgkmcnt(0)
	v_mul_f64 v[71:72], v[53:54], v[75:76]
	v_fma_f64 v[38:39], v[38:39], v[69:70], v[65:66]
	v_mul_f64 v[65:66], v[8:9], v[75:76]
	s_waitcnt vmcnt(9)
	v_mul_f64 v[69:70], v[55:56], v[97:98]
	v_mul_f64 v[97:98], v[10:11], v[97:98]
	ds_read_b64 v[75:76], v42
	v_fma_f64 v[71:72], v[8:9], v[73:74], -v[71:72]
	v_fma_f64 v[53:54], v[53:54], v[73:74], v[65:66]
	ds_read_b64 v[8:9], v44
	ds_read_b64 v[65:66], v45
	v_fma_f64 v[69:70], v[10:11], v[95:96], -v[69:70]
	s_waitcnt vmcnt(8) lgkmcnt(2)
	v_mul_f64 v[10:11], v[75:76], v[101:102]
	v_fma_f64 v[55:56], v[55:56], v[95:96], v[97:98]
	v_mul_f64 v[95:96], v[33:34], v[101:102]
	ds_read_b64 v[73:74], v41
	ds_read_b64 v[97:98], v47
	;; [unrolled: 1-line block ×3, first 2 shown]
	s_waitcnt vmcnt(7) lgkmcnt(4)
	v_mul_f64 v[101:102], v[8:9], v[105:106]
	v_mul_f64 v[105:106], v[31:32], v[105:106]
	s_waitcnt lgkmcnt(3)
	v_add_f64 v[61:62], v[65:66], -v[61:62]
	v_fma_f64 v[33:34], v[33:34], v[99:100], -v[10:11]
	s_waitcnt vmcnt(6) lgkmcnt(1)
	v_mul_f64 v[137:138], v[97:98], v[109:110]
	v_fma_f64 v[75:76], v[75:76], v[99:100], v[95:96]
	ds_read_b64 v[95:96], v48
	ds_read_b64 v[99:100], v46
	v_fma_f64 v[101:102], v[31:32], v[103:104], -v[101:102]
	v_mul_f64 v[31:32], v[29:30], v[109:110]
	v_fma_f64 v[103:104], v[8:9], v[103:104], v[105:106]
	s_waitcnt vmcnt(5) lgkmcnt(2)
	v_mul_f64 v[105:106], v[121:122], v[113:114]
	v_mul_f64 v[113:114], v[27:28], v[113:114]
	ds_read2_b64 v[8:11], v43 offset0:224 offset1:240
	v_fma_f64 v[65:66], v[65:66], 2.0, -v[61:62]
	v_fma_f64 v[109:110], v[29:30], v[107:108], -v[137:138]
	v_fma_f64 v[97:98], v[97:98], v[107:108], v[31:32]
	ds_read2_b64 v[29:32], v43 offset0:192 offset1:208
	v_fma_f64 v[27:28], v[27:28], v[111:112], -v[105:106]
	s_waitcnt vmcnt(4)
	v_mul_f64 v[105:106], v[2:3], v[117:118]
	s_waitcnt lgkmcnt(1)
	v_mul_f64 v[107:108], v[10:11], v[117:118]
	v_fma_f64 v[111:112], v[121:122], v[111:112], v[113:114]
	s_waitcnt vmcnt(1)
	v_mul_f64 v[121:122], v[8:9], v[133:134]
	v_add_f64 v[36:37], v[103:104], -v[36:37]
	s_waitcnt lgkmcnt(0)
	v_mul_f64 v[113:114], v[29:30], v[125:126]
	v_mul_f64 v[117:118], v[31:32], v[129:130]
	v_add_f64 v[38:39], v[97:98], -v[38:39]
	v_fma_f64 v[10:11], v[10:11], v[115:116], v[105:106]
	ds_read_b64 v[105:106], v51
	v_fma_f64 v[2:3], v[2:3], v[115:116], -v[107:108]
	ds_read_b64 v[115:116], v50
	v_mul_f64 v[107:108], v[4:5], v[125:126]
	v_add_f64 v[53:54], v[111:112], -v[53:54]
	s_waitcnt vmcnt(0) lgkmcnt(0)
	s_barrier
	buffer_gl0_inv
	v_fma_f64 v[4:5], v[4:5], v[123:124], -v[113:114]
	v_fma_f64 v[113:114], v[6:7], v[127:128], -v[117:118]
	;; [unrolled: 1-line block ×3, first 2 shown]
	v_mul_f64 v[0:1], v[0:1], v[133:134]
	v_mul_f64 v[6:7], v[6:7], v[129:130]
	v_add_f64 v[10:11], v[75:76], -v[10:11]
	v_add_f64 v[2:3], v[33:34], -v[2:3]
	v_fma_f64 v[29:30], v[29:30], v[123:124], v[107:108]
	v_add_f64 v[4:5], v[16:17], -v[4:5]
	v_fma_f64 v[0:1], v[8:9], v[131:132], v[0:1]
	;; [unrolled: 2-line block ×3, first 2 shown]
	v_add_f64 v[31:32], v[14:15], -v[135:136]
	v_add_f64 v[77:78], v[73:74], -v[119:120]
	v_fma_f64 v[33:34], v[33:34], 2.0, -v[2:3]
	v_add_f64 v[29:30], v[99:100], -v[29:30]
	v_fma_f64 v[16:17], v[16:17], 2.0, -v[4:5]
	;; [unrolled: 2-line block ×5, first 2 shown]
	v_fma_f64 v[73:74], v[73:74], 2.0, -v[77:78]
	v_add_f64 v[75:76], v[31:32], -v[36:37]
	v_fma_f64 v[36:37], v[103:104], 2.0, -v[36:37]
	v_add_f64 v[103:104], v[4:5], -v[38:39]
	v_fma_f64 v[38:39], v[97:98], 2.0, -v[38:39]
	v_fma_f64 v[97:98], v[99:100], 2.0, -v[29:30]
	;; [unrolled: 1-line block ×3, first 2 shown]
	v_add_f64 v[111:112], v[77:78], v[2:3]
	v_add_f64 v[33:34], v[12:13], -v[33:34]
	v_fma_f64 v[95:96], v[95:96], 2.0, -v[6:7]
	v_fma_f64 v[2:3], v[8:9], 2.0, -v[18:19]
	v_mul_f64 v[121:122], v[105:106], v[59:60]
	v_fma_f64 v[8:9], v[31:32], 2.0, -v[75:76]
	v_fma_f64 v[4:5], v[4:5], 2.0, -v[103:104]
	ds_write2_b64 v43, v[33:34], v[18:19] offset0:80 offset1:120
	v_add_f64 v[99:100], v[95:96], -v[99:100]
	v_fma_f64 v[121:122], v[25:26], v[57:58], -v[121:122]
	v_mul_f64 v[25:26], v[25:26], v[59:60]
	v_add_f64 v[59:60], v[109:110], -v[67:68]
	v_add_f64 v[67:68], v[27:28], -v[71:72]
	;; [unrolled: 1-line block ×4, first 2 shown]
	v_fma_f64 v[95:96], v[95:96], 2.0, -v[99:100]
	v_add_f64 v[69:70], v[121:122], -v[69:70]
	v_fma_f64 v[25:26], v[105:106], v[57:58], v[25:26]
	v_add_f64 v[57:58], v[101:102], -v[63:64]
	v_add_f64 v[63:64], v[21:22], -v[113:114]
	v_fma_f64 v[105:106], v[109:110], 2.0, -v[59:60]
	v_fma_f64 v[27:28], v[27:28], 2.0, -v[67:68]
	;; [unrolled: 1-line block ×4, first 2 shown]
	v_add_f64 v[59:60], v[29:30], v[59:60]
	v_add_f64 v[67:68], v[6:7], v[67:68]
	v_add_f64 v[113:114], v[73:74], -v[10:11]
	v_fma_f64 v[10:11], v[12:13], 2.0, -v[33:34]
	v_add_f64 v[115:116], v[65:66], -v[36:37]
	v_fma_f64 v[97:98], v[97:98], 2.0, -v[117:118]
	v_fma_f64 v[107:108], v[121:122], 2.0, -v[69:70]
	v_add_f64 v[55:56], v[25:26], -v[55:56]
	v_fma_f64 v[101:102], v[101:102], 2.0, -v[57:58]
	v_fma_f64 v[21:22], v[21:22], 2.0, -v[63:64]
	v_add_f64 v[105:106], v[16:17], -v[105:106]
	v_add_f64 v[53:54], v[63:64], -v[53:54]
	v_add_f64 v[69:70], v[0:1], v[69:70]
	v_add_f64 v[57:58], v[61:62], v[57:58]
	v_fma_f64 v[73:74], v[73:74], 2.0, -v[113:114]
	v_fma_f64 v[65:66], v[65:66], 2.0, -v[115:116]
	v_add_f64 v[107:108], v[23:24], -v[107:108]
	v_fma_f64 v[25:26], v[25:26], 2.0, -v[55:56]
	v_add_f64 v[101:102], v[14:15], -v[101:102]
	v_add_f64 v[27:28], v[21:22], -v[27:28]
	;; [unrolled: 1-line block ×3, first 2 shown]
	v_fma_f64 v[16:17], v[16:17], 2.0, -v[105:106]
	v_fma_f64 v[121:122], v[0:1], 2.0, -v[69:70]
	;; [unrolled: 1-line block ×4, first 2 shown]
	v_add_f64 v[119:120], v[109:110], -v[25:26]
	v_fma_f64 v[12:13], v[14:15], 2.0, -v[101:102]
	v_fma_f64 v[21:22], v[21:22], 2.0, -v[27:28]
	;; [unrolled: 1-line block ×7, first 2 shown]
	ds_write2_b64 v43, v[10:11], v[2:3] offset1:40
	ds_write2_b64 v45, v[12:13], v[8:9] offset1:40
	ds_write2_b64 v45, v[101:102], v[75:76] offset0:80 offset1:120
	ds_write2_b64 v79, v[16:17], v[4:5] offset1:40
	ds_write2_b64 v79, v[105:106], v[103:104] offset0:80 offset1:120
	ds_write2_b64 v43, v[21:22], v[23:24] offset0:168 offset1:184
	;; [unrolled: 1-line block ×5, first 2 shown]
	s_waitcnt lgkmcnt(0)
	s_barrier
	buffer_gl0_inv
	ds_read_b64 v[29:30], v41
	ds_read_b64 v[25:26], v46
	;; [unrolled: 1-line block ×10, first 2 shown]
	ds_read2_b64 v[8:11], v43 offset0:160 offset1:176
	ds_read2_b64 v[0:3], v43 offset0:192 offset1:208
	;; [unrolled: 1-line block ×3, first 2 shown]
	ds_read2_b64 v[12:15], v52 offset1:16
	ds_read2_b64 v[16:19], v52 offset0:32 offset1:48
	v_fma_f64 v[109:110], v[109:110], 2.0, -v[119:120]
	s_waitcnt lgkmcnt(0)
	s_barrier
	buffer_gl0_inv
	ds_write2_b64 v43, v[73:74], v[63:64] offset1:40
	ds_write2_b64 v43, v[113:114], v[111:112] offset0:80 offset1:120
	ds_write2_b64 v45, v[65:66], v[61:62] offset1:40
	ds_write2_b64 v45, v[115:116], v[57:58] offset0:80 offset1:120
	;; [unrolled: 2-line block ×3, first 2 shown]
	ds_write2_b64 v43, v[95:96], v[109:110] offset0:168 offset1:184
	ds_write2_b64 v43, v[77:78], v[121:122] offset0:208 offset1:224
	;; [unrolled: 1-line block ×4, first 2 shown]
	s_waitcnt lgkmcnt(0)
	s_barrier
	buffer_gl0_inv
	s_and_saveexec_b32 s0, vcc_lo
	s_cbranch_execz .LBB0_15
; %bb.14:
	v_mov_b32_e32 v93, v20
	v_mov_b32_e32 v91, v20
	;; [unrolled: 1-line block ×3, first 2 shown]
	v_add_co_u32 v79, s0, s8, v94
	v_lshlrev_b64 v[53:54], 4, v[92:93]
	v_lshlrev_b64 v[55:56], 4, v[90:91]
	;; [unrolled: 1-line block ×3, first 2 shown]
	v_mov_b32_e32 v88, v20
	v_or_b32_e32 v135, 0xf00, v94
	v_or_b32_e32 v137, 0x1000, v94
	v_add_co_u32 v53, vcc_lo, s8, v53
	v_add_co_ci_u32_e32 v54, vcc_lo, s9, v54, vcc_lo
	v_add_co_u32 v55, vcc_lo, s8, v55
	v_add_co_ci_u32_e32 v56, vcc_lo, s9, v56, vcc_lo
	;; [unrolled: 2-line block ×5, first 2 shown]
	v_lshlrev_b64 v[61:62], 4, v[87:88]
	s_clause 0x1
	global_load_dwordx4 v[53:56], v[53:54], off offset:352
	global_load_dwordx4 v[57:60], v[57:58], off offset:352
	v_add_co_u32 v63, vcc_lo, 0x800, v63
	v_mov_b32_e32 v87, v20
	v_add_co_ci_u32_e32 v64, vcc_lo, 0, v64, vcc_lo
	v_add_co_u32 v65, vcc_lo, s8, v61
	v_add_co_ci_u32_e32 v66, vcc_lo, s9, v62, vcc_lo
	v_lshlrev_b64 v[61:62], 4, v[86:87]
	v_add_co_u32 v65, vcc_lo, 0x800, v65
	v_add_co_ci_u32_e32 v66, vcc_lo, 0, v66, vcc_lo
	v_mov_b32_e32 v86, v20
	v_add_co_u32 v61, vcc_lo, s8, v61
	v_add_co_ci_u32_e32 v62, vcc_lo, s9, v62, vcc_lo
	v_lshlrev_b64 v[73:74], 4, v[85:86]
	v_add_co_u32 v69, vcc_lo, 0x800, v61
	v_add_co_ci_u32_e32 v70, vcc_lo, 0, v62, vcc_lo
	s_clause 0x2
	global_load_dwordx4 v[61:64], v[63:64], off offset:352
	global_load_dwordx4 v[65:68], v[65:66], off offset:352
	;; [unrolled: 1-line block ×3, first 2 shown]
	v_mov_b32_e32 v85, v20
	v_add_co_u32 v75, vcc_lo, s8, v73
	v_add_co_ci_u32_e32 v76, vcc_lo, s9, v74, vcc_lo
	v_lshlrev_b64 v[73:74], 4, v[84:85]
	v_add_co_u32 v75, vcc_lo, 0x800, v75
	v_mov_b32_e32 v84, v20
	v_add_co_ci_u32_e32 v76, vcc_lo, 0, v76, vcc_lo
	v_add_co_u32 v77, vcc_lo, s8, v73
	v_add_co_ci_u32_e32 v78, vcc_lo, s9, v74, vcc_lo
	v_lshlrev_b64 v[73:74], 4, v[83:84]
	v_add_co_u32 v77, vcc_lo, 0x800, v77
	v_mov_b32_e32 v83, v20
	v_add_co_ci_u32_e32 v78, vcc_lo, 0, v78, vcc_lo
	v_add_co_u32 v73, vcc_lo, s8, v73
	v_add_co_ci_u32_e32 v74, vcc_lo, s9, v74, vcc_lo
	v_lshlrev_b64 v[90:91], 4, v[82:83]
	v_add_co_u32 v86, vcc_lo, 0x800, v73
	v_add_co_ci_u32_e32 v87, vcc_lo, 0, v74, vcc_lo
	s_clause 0x2
	global_load_dwordx4 v[73:76], v[75:76], off offset:352
	global_load_dwordx4 v[82:85], v[77:78], off offset:352
	;; [unrolled: 1-line block ×3, first 2 shown]
	v_add_co_u32 v20, vcc_lo, s8, v90
	v_add_co_ci_u32_e32 v78, vcc_lo, s9, v91, vcc_lo
	v_add_co_ci_u32_e64 v90, null, s9, 0, s0
	v_add_co_u32 v77, vcc_lo, 0x800, v20
	v_add_co_ci_u32_e32 v78, vcc_lo, 0, v78, vcc_lo
	v_add_co_u32 v95, vcc_lo, 0x800, v79
	v_add_co_ci_u32_e32 v96, vcc_lo, 0, v90, vcc_lo
	s_clause 0x1
	global_load_dwordx4 v[90:93], v[77:78], off offset:352
	global_load_dwordx4 v[95:98], v[95:96], off offset:352
	ds_read2_b64 v[99:102], v52 offset0:32 offset1:48
	ds_read2_b64 v[103:106], v52 offset1:16
	ds_read2_b64 v[107:110], v43 offset0:224 offset1:240
	ds_read_b64 v[77:78], v51
	ds_read_b64 v[115:116], v50
	ds_read2_b64 v[111:114], v43 offset0:192 offset1:208
	ds_read_b64 v[117:118], v49
	ds_read_b64 v[119:120], v48
	;; [unrolled: 1-line block ×4, first 2 shown]
	ds_read2_b64 v[46:49], v43 offset0:160 offset1:176
	ds_read_b64 v[127:128], v44
	ds_read_b64 v[129:130], v45
	;; [unrolled: 1-line block ×4, first 2 shown]
	v_add_co_u32 v20, vcc_lo, s2, v80
	v_add_co_ci_u32_e32 v139, vcc_lo, s3, v81, vcc_lo
	v_or_b32_e32 v45, 0xb00, v94
	v_or_b32_e32 v79, 0xc00, v94
	;; [unrolled: 1-line block ×9, first 2 shown]
	s_waitcnt vmcnt(9) lgkmcnt(14)
	v_mul_f64 v[50:51], v[53:54], v[101:102]
	v_mul_f64 v[101:102], v[55:56], v[101:102]
	s_waitcnt vmcnt(8)
	v_mul_f64 v[125:126], v[16:17], v[59:60]
	v_mul_f64 v[41:42], v[99:100], v[59:60]
	v_fma_f64 v[43:44], v[18:19], v[55:56], v[50:51]
	v_fma_f64 v[18:19], v[18:19], v[53:54], -v[101:102]
	v_fma_f64 v[54:55], v[99:100], v[57:58], v[125:126]
	s_waitcnt vmcnt(7) lgkmcnt(13)
	v_mul_f64 v[52:53], v[105:106], v[63:64]
	v_mul_f64 v[50:51], v[14:15], v[63:64]
	v_fma_f64 v[16:17], v[16:17], v[57:58], -v[41:42]
	s_waitcnt vmcnt(6)
	v_mul_f64 v[41:42], v[103:104], v[67:68]
	s_waitcnt vmcnt(5)
	v_mul_f64 v[56:57], v[6:7], v[71:72]
	v_mul_f64 v[59:60], v[12:13], v[67:68]
	v_add_co_u32 v99, vcc_lo, v20, v94
	v_add_co_ci_u32_e32 v100, vcc_lo, 0, v139, vcc_lo
	v_add_co_u32 v101, vcc_lo, v20, v45
	v_add_co_ci_u32_e32 v102, vcc_lo, 0, v139, vcc_lo
	;; [unrolled: 2-line block ×3, first 2 shown]
	v_fma_f64 v[14:15], v[14:15], v[61:62], -v[52:53]
	s_waitcnt lgkmcnt(12)
	v_mul_f64 v[52:53], v[109:110], v[71:72]
	v_fma_f64 v[50:51], v[105:106], v[61:62], v[50:51]
	v_fma_f64 v[12:13], v[12:13], v[65:66], -v[41:42]
	v_fma_f64 v[56:57], v[109:110], v[69:70], v[56:57]
	v_fma_f64 v[58:59], v[103:104], v[65:66], v[59:60]
	v_add_co_u32 v103, vcc_lo, v20, v80
	v_add_co_ci_u32_e32 v104, vcc_lo, 0, v139, vcc_lo
	s_waitcnt vmcnt(4)
	v_mul_f64 v[61:62], v[4:5], v[75:76]
	v_mul_f64 v[41:42], v[107:108], v[75:76]
	s_waitcnt vmcnt(2)
	v_mul_f64 v[67:68], v[0:1], v[88:89]
	s_waitcnt lgkmcnt(9)
	v_mul_f64 v[71:72], v[111:112], v[88:89]
	v_mul_f64 v[63:64], v[2:3], v[84:85]
	;; [unrolled: 1-line block ×3, first 2 shown]
	v_add_co_u32 v105, vcc_lo, v20, v81
	v_add_co_ci_u32_e32 v106, vcc_lo, 0, v139, vcc_lo
	v_add_co_u32 v135, vcc_lo, v20, v135
	v_add_co_ci_u32_e32 v136, vcc_lo, 0, v139, vcc_lo
	v_fma_f64 v[69:70], v[6:7], v[69:70], -v[52:53]
	v_add_f64 v[12:13], v[21:22], -v[12:13]
	s_waitcnt vmcnt(1)
	v_mul_f64 v[6:7], v[10:11], v[92:93]
	s_waitcnt vmcnt(0)
	v_mul_f64 v[52:53], v[8:9], v[97:98]
	s_waitcnt lgkmcnt(4)
	v_mul_f64 v[75:76], v[46:47], v[97:98]
	v_mul_f64 v[79:80], v[48:49], v[92:93]
	v_fma_f64 v[60:61], v[107:108], v[73:74], v[61:62]
	v_fma_f64 v[41:42], v[4:5], v[73:74], -v[41:42]
	v_fma_f64 v[67:68], v[111:112], v[86:87], v[67:68]
	v_fma_f64 v[71:72], v[0:1], v[86:87], -v[71:72]
	v_fma_f64 v[62:63], v[113:114], v[82:83], v[63:64]
	v_fma_f64 v[64:65], v[2:3], v[82:83], -v[65:66]
	v_add_f64 v[2:3], v[77:78], -v[43:44]
	v_add_f64 v[0:1], v[39:40], -v[18:19]
	s_waitcnt lgkmcnt(1)
	v_add_f64 v[18:19], v[131:132], -v[56:57]
	v_add_f64 v[4:5], v[23:24], -v[16:17]
	v_add_co_u32 v97, vcc_lo, v20, v137
	v_add_co_ci_u32_e32 v98, vcc_lo, 0, v139, vcc_lo
	v_add_f64 v[16:17], v[27:28], -v[69:70]
	v_add_co_u32 v107, vcc_lo, v20, v138
	v_add_co_ci_u32_e32 v108, vcc_lo, 0, v139, vcc_lo
	v_fma_f64 v[45:46], v[46:47], v[95:96], v[52:53]
	v_fma_f64 v[75:76], v[8:9], v[95:96], -v[75:76]
	v_fma_f64 v[84:85], v[48:49], v[90:91], v[6:7]
	v_fma_f64 v[79:80], v[10:11], v[90:91], -v[79:80]
	v_add_f64 v[8:9], v[31:32], -v[14:15]
	v_add_f64 v[14:15], v[127:128], -v[58:59]
	;; [unrolled: 1-line block ×9, first 2 shown]
	v_add_co_u32 v109, vcc_lo, v20, v140
	v_add_co_ci_u32_e32 v110, vcc_lo, 0, v139, vcc_lo
	v_add_co_u32 v111, vcc_lo, v20, v141
	v_add_co_ci_u32_e32 v112, vcc_lo, 0, v139, vcc_lo
	v_add_co_u32 v113, vcc_lo, v20, v142
	s_waitcnt lgkmcnt(0)
	v_add_f64 v[59:60], v[133:134], -v[45:46]
	v_add_f64 v[57:58], v[29:30], -v[75:76]
	;; [unrolled: 1-line block ×5, first 2 shown]
	v_fma_f64 v[63:64], v[77:78], 2.0, -v[2:3]
	v_fma_f64 v[79:80], v[115:116], 2.0, -v[43:44]
	v_add_co_ci_u32_e32 v114, vcc_lo, 0, v139, vcc_lo
	v_fma_f64 v[87:88], v[123:124], 2.0, -v[51:52]
	v_fma_f64 v[85:86], v[25:26], 2.0, -v[49:50]
	;; [unrolled: 1-line block ×6, first 2 shown]
	v_add_co_u32 v137, vcc_lo, 0x800, v99
	v_fma_f64 v[71:72], v[127:128], 2.0, -v[14:15]
	v_fma_f64 v[69:70], v[21:22], 2.0, -v[12:13]
	;; [unrolled: 1-line block ×4, first 2 shown]
	v_add_co_ci_u32_e32 v138, vcc_lo, 0, v100, vcc_lo
	v_fma_f64 v[95:96], v[133:134], 2.0, -v[59:60]
	v_fma_f64 v[93:94], v[29:30], 2.0, -v[57:58]
	;; [unrolled: 1-line block ×8, first 2 shown]
	v_add_co_u32 v20, vcc_lo, v20, v143
	v_add_co_ci_u32_e32 v21, vcc_lo, 0, v139, vcc_lo
	global_store_dwordx4 v[137:138], v[57:60], off offset:512
	global_store_dwordx4 v[101:102], v[53:56], off
	global_store_dwordx4 v[125:126], v[49:52], off
	;; [unrolled: 1-line block ×9, first 2 shown]
	global_store_dwordx4 v[99:100], v[89:92], off offset:256
	global_store_dwordx4 v[99:100], v[85:88], off offset:512
	;; [unrolled: 1-line block ×7, first 2 shown]
	global_store_dwordx4 v[109:110], v[37:40], off
	global_store_dwordx4 v[113:114], v[61:64], off
	;; [unrolled: 1-line block ×3, first 2 shown]
.LBB0_15:
	s_endpgm
	.section	.rodata,"a",@progbits
	.p2align	6, 0x0
	.amdhsa_kernel fft_rtc_fwd_len320_factors_10_4_4_2_wgs_64_tpt_16_halfLds_dp_ip_CI_unitstride_sbrr_dirReg
		.amdhsa_group_segment_fixed_size 0
		.amdhsa_private_segment_fixed_size 0
		.amdhsa_kernarg_size 88
		.amdhsa_user_sgpr_count 6
		.amdhsa_user_sgpr_private_segment_buffer 1
		.amdhsa_user_sgpr_dispatch_ptr 0
		.amdhsa_user_sgpr_queue_ptr 0
		.amdhsa_user_sgpr_kernarg_segment_ptr 1
		.amdhsa_user_sgpr_dispatch_id 0
		.amdhsa_user_sgpr_flat_scratch_init 0
		.amdhsa_user_sgpr_private_segment_size 0
		.amdhsa_wavefront_size32 1
		.amdhsa_uses_dynamic_stack 0
		.amdhsa_system_sgpr_private_segment_wavefront_offset 0
		.amdhsa_system_sgpr_workgroup_id_x 1
		.amdhsa_system_sgpr_workgroup_id_y 0
		.amdhsa_system_sgpr_workgroup_id_z 0
		.amdhsa_system_sgpr_workgroup_info 0
		.amdhsa_system_vgpr_workitem_id 0
		.amdhsa_next_free_vgpr 144
		.amdhsa_next_free_sgpr 21
		.amdhsa_reserve_vcc 1
		.amdhsa_reserve_flat_scratch 0
		.amdhsa_float_round_mode_32 0
		.amdhsa_float_round_mode_16_64 0
		.amdhsa_float_denorm_mode_32 3
		.amdhsa_float_denorm_mode_16_64 3
		.amdhsa_dx10_clamp 1
		.amdhsa_ieee_mode 1
		.amdhsa_fp16_overflow 0
		.amdhsa_workgroup_processor_mode 1
		.amdhsa_memory_ordered 1
		.amdhsa_forward_progress 0
		.amdhsa_shared_vgpr_count 0
		.amdhsa_exception_fp_ieee_invalid_op 0
		.amdhsa_exception_fp_denorm_src 0
		.amdhsa_exception_fp_ieee_div_zero 0
		.amdhsa_exception_fp_ieee_overflow 0
		.amdhsa_exception_fp_ieee_underflow 0
		.amdhsa_exception_fp_ieee_inexact 0
		.amdhsa_exception_int_div_zero 0
	.end_amdhsa_kernel
	.text
.Lfunc_end0:
	.size	fft_rtc_fwd_len320_factors_10_4_4_2_wgs_64_tpt_16_halfLds_dp_ip_CI_unitstride_sbrr_dirReg, .Lfunc_end0-fft_rtc_fwd_len320_factors_10_4_4_2_wgs_64_tpt_16_halfLds_dp_ip_CI_unitstride_sbrr_dirReg
                                        ; -- End function
	.section	.AMDGPU.csdata,"",@progbits
; Kernel info:
; codeLenInByte = 10556
; NumSgprs: 23
; NumVgprs: 144
; ScratchSize: 0
; MemoryBound: 1
; FloatMode: 240
; IeeeMode: 1
; LDSByteSize: 0 bytes/workgroup (compile time only)
; SGPRBlocks: 2
; VGPRBlocks: 17
; NumSGPRsForWavesPerEU: 23
; NumVGPRsForWavesPerEU: 144
; Occupancy: 7
; WaveLimiterHint : 1
; COMPUTE_PGM_RSRC2:SCRATCH_EN: 0
; COMPUTE_PGM_RSRC2:USER_SGPR: 6
; COMPUTE_PGM_RSRC2:TRAP_HANDLER: 0
; COMPUTE_PGM_RSRC2:TGID_X_EN: 1
; COMPUTE_PGM_RSRC2:TGID_Y_EN: 0
; COMPUTE_PGM_RSRC2:TGID_Z_EN: 0
; COMPUTE_PGM_RSRC2:TIDIG_COMP_CNT: 0
	.text
	.p2alignl 6, 3214868480
	.fill 48, 4, 3214868480
	.type	__hip_cuid_8d4bccae4438f972,@object ; @__hip_cuid_8d4bccae4438f972
	.section	.bss,"aw",@nobits
	.globl	__hip_cuid_8d4bccae4438f972
__hip_cuid_8d4bccae4438f972:
	.byte	0                               ; 0x0
	.size	__hip_cuid_8d4bccae4438f972, 1

	.ident	"AMD clang version 19.0.0git (https://github.com/RadeonOpenCompute/llvm-project roc-6.4.0 25133 c7fe45cf4b819c5991fe208aaa96edf142730f1d)"
	.section	".note.GNU-stack","",@progbits
	.addrsig
	.addrsig_sym __hip_cuid_8d4bccae4438f972
	.amdgpu_metadata
---
amdhsa.kernels:
  - .args:
      - .actual_access:  read_only
        .address_space:  global
        .offset:         0
        .size:           8
        .value_kind:     global_buffer
      - .offset:         8
        .size:           8
        .value_kind:     by_value
      - .actual_access:  read_only
        .address_space:  global
        .offset:         16
        .size:           8
        .value_kind:     global_buffer
      - .actual_access:  read_only
        .address_space:  global
        .offset:         24
        .size:           8
        .value_kind:     global_buffer
      - .offset:         32
        .size:           8
        .value_kind:     by_value
      - .actual_access:  read_only
        .address_space:  global
        .offset:         40
        .size:           8
        .value_kind:     global_buffer
      - .actual_access:  read_only
        .address_space:  global
        .offset:         48
        .size:           8
        .value_kind:     global_buffer
      - .offset:         56
        .size:           4
        .value_kind:     by_value
      - .actual_access:  read_only
        .address_space:  global
        .offset:         64
        .size:           8
        .value_kind:     global_buffer
      - .actual_access:  read_only
        .address_space:  global
        .offset:         72
        .size:           8
        .value_kind:     global_buffer
      - .address_space:  global
        .offset:         80
        .size:           8
        .value_kind:     global_buffer
    .group_segment_fixed_size: 0
    .kernarg_segment_align: 8
    .kernarg_segment_size: 88
    .language:       OpenCL C
    .language_version:
      - 2
      - 0
    .max_flat_workgroup_size: 64
    .name:           fft_rtc_fwd_len320_factors_10_4_4_2_wgs_64_tpt_16_halfLds_dp_ip_CI_unitstride_sbrr_dirReg
    .private_segment_fixed_size: 0
    .sgpr_count:     23
    .sgpr_spill_count: 0
    .symbol:         fft_rtc_fwd_len320_factors_10_4_4_2_wgs_64_tpt_16_halfLds_dp_ip_CI_unitstride_sbrr_dirReg.kd
    .uniform_work_group_size: 1
    .uses_dynamic_stack: false
    .vgpr_count:     144
    .vgpr_spill_count: 0
    .wavefront_size: 32
    .workgroup_processor_mode: 1
amdhsa.target:   amdgcn-amd-amdhsa--gfx1030
amdhsa.version:
  - 1
  - 2
...

	.end_amdgpu_metadata
